;; amdgpu-corpus repo=ROCm/vllm kind=compiled arch=gfx90a opt=O3
	.text
	.amdgcn_target "amdgcn-amd-amdhsa--gfx90a"
	.amdhsa_code_object_version 6
	.section	.text._ZN4vllm24merge_attn_states_kernelIfLj128EEEvPT_PfPKS1_PKfS5_S7_jjj,"axG",@progbits,_ZN4vllm24merge_attn_states_kernelIfLj128EEEvPT_PfPKS1_PKfS5_S7_jjj,comdat
	.protected	_ZN4vllm24merge_attn_states_kernelIfLj128EEEvPT_PfPKS1_PKfS5_S7_jjj ; -- Begin function _ZN4vllm24merge_attn_states_kernelIfLj128EEEvPT_PfPKS1_PKfS5_S7_jjj
	.globl	_ZN4vllm24merge_attn_states_kernelIfLj128EEEvPT_PfPKS1_PKfS5_S7_jjj
	.p2align	8
	.type	_ZN4vllm24merge_attn_states_kernelIfLj128EEEvPT_PfPKS1_PKfS5_S7_jjj,@function
_ZN4vllm24merge_attn_states_kernelIfLj128EEEvPT_PfPKS1_PKfS5_S7_jjj: ; @_ZN4vllm24merge_attn_states_kernelIfLj128EEEvPT_PfPKS1_PKfS5_S7_jjj
; %bb.0:
	s_load_dwordx4 s[0:3], s[4:5], 0x30
	v_lshl_add_u32 v2, s6, 7, v0
	s_waitcnt lgkmcnt(0)
	s_lshr_b32 s3, s2, 2
	s_mul_i32 s6, s1, s0
	s_mul_i32 s6, s6, s3
	v_cmp_gt_u32_e32 vcc, s6, v2
	s_and_saveexec_b64 s[6:7], vcc
	s_cbranch_execz .LBB0_5
; %bb.1:
	v_cvt_f32_u32_e32 v0, s3
	v_cvt_f32_u32_e32 v1, s1
	s_sub_i32 s16, 0, s3
	s_load_dwordx8 s[8:15], s[4:5], 0x0
	v_rcp_iflag_f32_e32 v0, v0
	v_rcp_iflag_f32_e32 v1, v1
	s_load_dwordx4 s[4:7], s[4:5], 0x20
	v_mov_b32_e32 v9, 0x7f800000
	v_mul_f32_e32 v0, 0x4f7ffffe, v0
	v_cvt_u32_f32_e32 v0, v0
	v_mul_f32_e32 v1, 0x4f7ffffe, v1
	v_cvt_u32_f32_e32 v1, v1
	v_mul_lo_u32 v3, s16, v0
	v_mul_hi_u32 v3, v0, v3
	v_add_u32_e32 v0, v0, v3
	v_mul_hi_u32 v0, v2, v0
	v_mul_lo_u32 v3, v0, s3
	v_sub_u32_e32 v3, v2, v3
	v_add_u32_e32 v4, 1, v0
	v_cmp_le_u32_e32 vcc, s3, v3
	v_cndmask_b32_e32 v0, v0, v4, vcc
	v_subrev_u32_e32 v4, s3, v3
	v_cndmask_b32_e32 v3, v3, v4, vcc
	v_add_u32_e32 v4, 1, v0
	v_cmp_le_u32_e32 vcc, s3, v3
	s_sub_i32 s16, 0, s1
	v_cndmask_b32_e32 v3, v0, v4, vcc
	v_mul_lo_u32 v0, s16, v1
	v_mul_hi_u32 v0, v1, v0
	v_add_u32_e32 v0, v1, v0
	v_mul_hi_u32 v0, v3, v0
	v_mul_lo_u32 v1, v0, s1
	v_sub_u32_e32 v1, v3, v1
	v_add_u32_e32 v4, 1, v0
	v_cmp_le_u32_e32 vcc, s1, v1
	v_cndmask_b32_e32 v0, v0, v4, vcc
	v_subrev_u32_e32 v4, s1, v1
	v_cndmask_b32_e32 v1, v1, v4, vcc
	v_add_u32_e32 v4, 1, v0
	v_cmp_le_u32_e32 vcc, s1, v1
	v_cndmask_b32_e32 v0, v0, v4, vcc
	v_mul_lo_u32 v1, v0, s1
	v_sub_u32_e32 v1, v3, v1
	v_mad_u64_u32 v[4:5], s[0:1], v1, s0, v[0:1]
	v_mov_b32_e32 v5, 0
	v_lshlrev_b64 v[0:1], 2, v[4:5]
	s_waitcnt lgkmcnt(0)
	v_mov_b32_e32 v4, s15
	v_add_co_u32_e32 v6, vcc, s14, v0
	v_addc_co_u32_e32 v7, vcc, v4, v1, vcc
	global_load_dword v4, v[6:7], off
	v_mov_b32_e32 v7, s7
	v_add_co_u32_e32 v6, vcc, s6, v0
	v_addc_co_u32_e32 v7, vcc, v7, v1, vcc
	global_load_dword v6, v[6:7], off
	s_mov_b32 s0, 0x7f800000
	v_mov_b32_e32 v7, 0xff800000
	s_mov_b32 s1, 0x3fb8aa3b
	s_mov_b32 s6, 0xc2ce8ed0
	v_mul_lo_u32 v8, v3, s3
	v_sub_u32_e32 v2, v2, v8
	s_mov_b32 s7, 0x42b17218
	s_waitcnt vmcnt(1)
	v_cmp_neq_f32_e64 vcc, |v4|, s0
	v_cndmask_b32_e32 v4, v7, v4, vcc
	v_max_f32_e32 v10, v4, v4
	s_waitcnt vmcnt(0)
	v_cmp_neq_f32_e64 vcc, |v6|, s0
	v_cndmask_b32_e32 v7, v7, v6, vcc
	v_max_f32_e32 v6, v7, v7
	v_max_f32_e32 v6, v10, v6
	v_sub_f32_e32 v4, v4, v6
	v_sub_f32_e32 v7, v7, v6
	v_mul_f32_e32 v10, 0x3fb8aa3b, v4
	v_mul_f32_e32 v11, 0x3fb8aa3b, v7
	v_fma_f32 v12, v4, s1, -v10
	v_rndne_f32_e32 v13, v10
	v_fma_f32 v14, v7, s1, -v11
	v_rndne_f32_e32 v15, v11
	v_fmac_f32_e32 v12, 0x32a5705f, v4
	v_sub_f32_e32 v10, v10, v13
	v_fmac_f32_e32 v14, 0x32a5705f, v7
	v_sub_f32_e32 v11, v11, v15
	v_add_f32_e32 v10, v10, v12
	v_cvt_i32_f32_e32 v13, v13
	v_add_f32_e32 v11, v11, v14
	v_exp_f32_e32 v10, v10
	v_cvt_i32_f32_e32 v15, v15
	v_exp_f32_e32 v11, v11
	v_cmp_ngt_f32_e32 vcc, s6, v4
	v_ldexp_f32 v8, v10, v13
	v_cndmask_b32_e32 v8, 0, v8, vcc
	v_ldexp_f32 v10, v11, v15
	v_cmp_ngt_f32_e32 vcc, s6, v7
	v_cndmask_b32_e32 v10, 0, v10, vcc
	v_cmp_nlt_f32_e32 vcc, s7, v4
	v_cndmask_b32_e32 v8, v9, v8, vcc
	v_cmp_nlt_f32_e32 vcc, s7, v7
	v_lshlrev_b32_e32 v12, 2, v2
	v_cndmask_b32_e32 v9, v9, v10, vcc
	v_add_f32_e32 v7, v8, v9
	v_cmp_gt_u32_e32 vcc, s2, v12
	s_and_saveexec_b64 s[6:7], vcc
	s_cbranch_execz .LBB0_3
; %bb.2:
	v_mul_lo_u32 v4, v3, s2
	v_lshlrev_b64 v[18:19], 2, v[4:5]
	v_mov_b32_e32 v3, s5
	v_add_co_u32_e32 v10, vcc, s4, v18
	v_addc_co_u32_e32 v11, vcc, v3, v19, vcc
	v_mov_b32_e32 v3, s13
	v_add_co_u32_e32 v14, vcc, s12, v18
	v_addc_co_u32_e32 v15, vcc, v3, v19, vcc
	v_mov_b32_e32 v3, v5
	v_lshlrev_b64 v[4:5], 4, v[2:3]
	v_add_co_u32_e32 v10, vcc, v10, v4
	v_addc_co_u32_e32 v11, vcc, v11, v5, vcc
	v_add_co_u32_e32 v14, vcc, v14, v4
	global_load_dwordx4 v[10:13], v[10:11], off
	v_addc_co_u32_e32 v15, vcc, v15, v5, vcc
	global_load_dwordx4 v[14:17], v[14:15], off
	v_div_scale_f32 v3, s[0:1], v7, v7, v9
	v_div_scale_f32 v21, s[0:1], v7, v7, v8
	v_rcp_f32_e32 v24, v3
	v_rcp_f32_e32 v25, v21
	v_mov_b32_e32 v23, s9
	v_add_co_u32_e64 v18, s[2:3], s8, v18
	v_addc_co_u32_e64 v19, s[2:3], v23, v19, s[2:3]
	v_add_co_u32_e64 v4, s[2:3], v18, v4
	v_fma_f32 v18, -v3, v24, 1.0
	v_div_scale_f32 v20, vcc, v9, v7, v9
	v_addc_co_u32_e64 v5, s[2:3], v19, v5, s[2:3]
	v_fma_f32 v19, -v21, v25, 1.0
	v_fmac_f32_e32 v24, v18, v24
	v_div_scale_f32 v22, s[0:1], v8, v7, v8
	v_fmac_f32_e32 v25, v19, v25
	v_mul_f32_e32 v18, v20, v24
	v_mul_f32_e32 v19, v22, v25
	v_fma_f32 v23, -v3, v18, v20
	v_fma_f32 v26, -v21, v19, v22
	v_fmac_f32_e32 v18, v23, v24
	v_fmac_f32_e32 v19, v26, v25
	v_fma_f32 v3, -v3, v18, v20
	v_fma_f32 v20, -v21, v19, v22
	v_div_fmas_f32 v3, v3, v24, v18
	s_mov_b64 vcc, s[0:1]
	v_div_fixup_f32 v18, v3, v7, v9
	v_div_fmas_f32 v3, v20, v25, v19
	v_div_fixup_f32 v20, v3, v7, v8
	s_waitcnt vmcnt(1)
	v_pk_mul_f32 v[8:9], v[18:19], v[10:11] op_sel_hi:[0,1]
	v_pk_mul_f32 v[10:11], v[18:19], v[12:13] op_sel_hi:[0,1]
	s_waitcnt vmcnt(0)
	v_pk_fma_f32 v[8:9], v[20:21], v[14:15], v[8:9] op_sel_hi:[0,1,1]
	v_pk_fma_f32 v[10:11], v[20:21], v[16:17], v[10:11] op_sel_hi:[0,1,1]
	global_store_dwordx4 v[4:5], v[8:11], off
.LBB0_3:
	s_or_b64 exec, exec, s[6:7]
	s_cmp_lg_u64 s[10:11], 0
	s_cselect_b64 s[0:1], -1, 0
	v_cmp_eq_u32_e32 vcc, 0, v2
	s_and_b64 s[0:1], s[0:1], vcc
	s_and_b64 exec, exec, s[0:1]
	s_cbranch_execz .LBB0_5
; %bb.4:
	s_mov_b32 s0, 0x800000
	v_mov_b32_e32 v3, 0x4f800000
	v_cmp_gt_f32_e32 vcc, s0, v7
	v_cndmask_b32_e32 v3, 1.0, v3, vcc
	v_mul_f32_e32 v3, v7, v3
	v_log_f32_e32 v3, v3
	v_mov_b32_e32 v2, s11
	v_add_co_u32_e64 v0, s[0:1], s10, v0
	v_addc_co_u32_e64 v1, s[0:1], v2, v1, s[0:1]
	s_mov_b32 s0, 0x3f317217
	v_mul_f32_e32 v2, 0x3f317217, v3
	v_fma_f32 v4, v3, s0, -v2
	v_fmac_f32_e32 v4, 0x3377d1cf, v3
	s_mov_b32 s0, 0x7f800000
	v_add_f32_e32 v2, v2, v4
	v_cmp_lt_f32_e64 s[0:1], |v3|, s0
	v_cndmask_b32_e64 v2, v3, v2, s[0:1]
	v_mov_b32_e32 v3, 0x41b17218
	v_cndmask_b32_e32 v3, 0, v3, vcc
	v_sub_f32_e32 v2, v2, v3
	v_add_f32_e32 v2, v6, v2
	global_store_dword v[0:1], v2, off
.LBB0_5:
	s_endpgm
	.section	.rodata,"a",@progbits
	.p2align	6, 0x0
	.amdhsa_kernel _ZN4vllm24merge_attn_states_kernelIfLj128EEEvPT_PfPKS1_PKfS5_S7_jjj
		.amdhsa_group_segment_fixed_size 0
		.amdhsa_private_segment_fixed_size 0
		.amdhsa_kernarg_size 60
		.amdhsa_user_sgpr_count 6
		.amdhsa_user_sgpr_private_segment_buffer 1
		.amdhsa_user_sgpr_dispatch_ptr 0
		.amdhsa_user_sgpr_queue_ptr 0
		.amdhsa_user_sgpr_kernarg_segment_ptr 1
		.amdhsa_user_sgpr_dispatch_id 0
		.amdhsa_user_sgpr_flat_scratch_init 0
		.amdhsa_user_sgpr_kernarg_preload_length 0
		.amdhsa_user_sgpr_kernarg_preload_offset 0
		.amdhsa_user_sgpr_private_segment_size 0
		.amdhsa_uses_dynamic_stack 0
		.amdhsa_system_sgpr_private_segment_wavefront_offset 0
		.amdhsa_system_sgpr_workgroup_id_x 1
		.amdhsa_system_sgpr_workgroup_id_y 0
		.amdhsa_system_sgpr_workgroup_id_z 0
		.amdhsa_system_sgpr_workgroup_info 0
		.amdhsa_system_vgpr_workitem_id 0
		.amdhsa_next_free_vgpr 27
		.amdhsa_next_free_sgpr 17
		.amdhsa_accum_offset 28
		.amdhsa_reserve_vcc 1
		.amdhsa_reserve_flat_scratch 0
		.amdhsa_float_round_mode_32 0
		.amdhsa_float_round_mode_16_64 0
		.amdhsa_float_denorm_mode_32 3
		.amdhsa_float_denorm_mode_16_64 3
		.amdhsa_dx10_clamp 1
		.amdhsa_ieee_mode 1
		.amdhsa_fp16_overflow 0
		.amdhsa_tg_split 0
		.amdhsa_exception_fp_ieee_invalid_op 0
		.amdhsa_exception_fp_denorm_src 0
		.amdhsa_exception_fp_ieee_div_zero 0
		.amdhsa_exception_fp_ieee_overflow 0
		.amdhsa_exception_fp_ieee_underflow 0
		.amdhsa_exception_fp_ieee_inexact 0
		.amdhsa_exception_int_div_zero 0
	.end_amdhsa_kernel
	.section	.text._ZN4vllm24merge_attn_states_kernelIfLj128EEEvPT_PfPKS1_PKfS5_S7_jjj,"axG",@progbits,_ZN4vllm24merge_attn_states_kernelIfLj128EEEvPT_PfPKS1_PKfS5_S7_jjj,comdat
.Lfunc_end0:
	.size	_ZN4vllm24merge_attn_states_kernelIfLj128EEEvPT_PfPKS1_PKfS5_S7_jjj, .Lfunc_end0-_ZN4vllm24merge_attn_states_kernelIfLj128EEEvPT_PfPKS1_PKfS5_S7_jjj
                                        ; -- End function
	.section	.AMDGPU.csdata,"",@progbits
; Kernel info:
; codeLenInByte = 1084
; NumSgprs: 21
; NumVgprs: 27
; NumAgprs: 0
; TotalNumVgprs: 27
; ScratchSize: 0
; MemoryBound: 0
; FloatMode: 240
; IeeeMode: 1
; LDSByteSize: 0 bytes/workgroup (compile time only)
; SGPRBlocks: 2
; VGPRBlocks: 3
; NumSGPRsForWavesPerEU: 21
; NumVGPRsForWavesPerEU: 27
; AccumOffset: 28
; Occupancy: 8
; WaveLimiterHint : 0
; COMPUTE_PGM_RSRC2:SCRATCH_EN: 0
; COMPUTE_PGM_RSRC2:USER_SGPR: 6
; COMPUTE_PGM_RSRC2:TRAP_HANDLER: 0
; COMPUTE_PGM_RSRC2:TGID_X_EN: 1
; COMPUTE_PGM_RSRC2:TGID_Y_EN: 0
; COMPUTE_PGM_RSRC2:TGID_Z_EN: 0
; COMPUTE_PGM_RSRC2:TIDIG_COMP_CNT: 0
; COMPUTE_PGM_RSRC3_GFX90A:ACCUM_OFFSET: 6
; COMPUTE_PGM_RSRC3_GFX90A:TG_SPLIT: 0
	.section	.text._ZN4vllm24merge_attn_states_kernelItLj128EEEvPT_PfPKS1_PKfS5_S7_jjj,"axG",@progbits,_ZN4vllm24merge_attn_states_kernelItLj128EEEvPT_PfPKS1_PKfS5_S7_jjj,comdat
	.protected	_ZN4vllm24merge_attn_states_kernelItLj128EEEvPT_PfPKS1_PKfS5_S7_jjj ; -- Begin function _ZN4vllm24merge_attn_states_kernelItLj128EEEvPT_PfPKS1_PKfS5_S7_jjj
	.globl	_ZN4vllm24merge_attn_states_kernelItLj128EEEvPT_PfPKS1_PKfS5_S7_jjj
	.p2align	8
	.type	_ZN4vllm24merge_attn_states_kernelItLj128EEEvPT_PfPKS1_PKfS5_S7_jjj,@function
_ZN4vllm24merge_attn_states_kernelItLj128EEEvPT_PfPKS1_PKfS5_S7_jjj: ; @_ZN4vllm24merge_attn_states_kernelItLj128EEEvPT_PfPKS1_PKfS5_S7_jjj
; %bb.0:
	s_load_dwordx4 s[0:3], s[4:5], 0x30
	v_lshl_add_u32 v2, s6, 7, v0
	s_waitcnt lgkmcnt(0)
	s_lshr_b32 s3, s2, 3
	s_mul_i32 s6, s1, s0
	s_mul_i32 s6, s6, s3
	v_cmp_gt_u32_e32 vcc, s6, v2
	s_and_saveexec_b64 s[6:7], vcc
	s_cbranch_execz .LBB1_5
; %bb.1:
	v_cvt_f32_u32_e32 v0, s3
	v_cvt_f32_u32_e32 v1, s1
	s_sub_i32 s16, 0, s3
	s_load_dwordx8 s[8:15], s[4:5], 0x0
	v_rcp_iflag_f32_e32 v0, v0
	v_rcp_iflag_f32_e32 v1, v1
	s_load_dwordx4 s[4:7], s[4:5], 0x20
	v_mov_b32_e32 v9, 0x7f800000
	v_mul_f32_e32 v0, 0x4f7ffffe, v0
	v_cvt_u32_f32_e32 v0, v0
	v_mul_f32_e32 v1, 0x4f7ffffe, v1
	v_cvt_u32_f32_e32 v1, v1
	v_mul_lo_u32 v3, s16, v0
	v_mul_hi_u32 v3, v0, v3
	v_add_u32_e32 v0, v0, v3
	v_mul_hi_u32 v0, v2, v0
	v_mul_lo_u32 v3, v0, s3
	v_sub_u32_e32 v3, v2, v3
	v_add_u32_e32 v4, 1, v0
	v_cmp_le_u32_e32 vcc, s3, v3
	v_cndmask_b32_e32 v0, v0, v4, vcc
	v_subrev_u32_e32 v4, s3, v3
	v_cndmask_b32_e32 v3, v3, v4, vcc
	v_add_u32_e32 v4, 1, v0
	v_cmp_le_u32_e32 vcc, s3, v3
	s_sub_i32 s16, 0, s1
	v_cndmask_b32_e32 v3, v0, v4, vcc
	v_mul_lo_u32 v0, s16, v1
	v_mul_hi_u32 v0, v1, v0
	v_add_u32_e32 v0, v1, v0
	v_mul_hi_u32 v0, v3, v0
	v_mul_lo_u32 v1, v0, s1
	v_sub_u32_e32 v1, v3, v1
	v_add_u32_e32 v4, 1, v0
	v_cmp_le_u32_e32 vcc, s1, v1
	v_cndmask_b32_e32 v0, v0, v4, vcc
	v_subrev_u32_e32 v4, s1, v1
	v_cndmask_b32_e32 v1, v1, v4, vcc
	v_add_u32_e32 v4, 1, v0
	v_cmp_le_u32_e32 vcc, s1, v1
	v_cndmask_b32_e32 v0, v0, v4, vcc
	v_mul_lo_u32 v1, v0, s1
	v_sub_u32_e32 v1, v3, v1
	v_mad_u64_u32 v[4:5], s[0:1], v1, s0, v[0:1]
	v_mov_b32_e32 v5, 0
	v_lshlrev_b64 v[0:1], 2, v[4:5]
	s_waitcnt lgkmcnt(0)
	v_mov_b32_e32 v4, s15
	v_add_co_u32_e32 v6, vcc, s14, v0
	v_addc_co_u32_e32 v7, vcc, v4, v1, vcc
	global_load_dword v4, v[6:7], off
	v_mov_b32_e32 v7, s7
	v_add_co_u32_e32 v6, vcc, s6, v0
	v_addc_co_u32_e32 v7, vcc, v7, v1, vcc
	global_load_dword v6, v[6:7], off
	s_mov_b32 s0, 0x7f800000
	v_mov_b32_e32 v7, 0xff800000
	s_mov_b32 s1, 0x3fb8aa3b
	s_mov_b32 s6, 0xc2ce8ed0
	v_mul_lo_u32 v8, v3, s3
	v_sub_u32_e32 v2, v2, v8
	s_mov_b32 s7, 0x42b17218
	s_waitcnt vmcnt(1)
	v_cmp_neq_f32_e64 vcc, |v4|, s0
	v_cndmask_b32_e32 v4, v7, v4, vcc
	v_max_f32_e32 v10, v4, v4
	s_waitcnt vmcnt(0)
	v_cmp_neq_f32_e64 vcc, |v6|, s0
	v_cndmask_b32_e32 v7, v7, v6, vcc
	v_max_f32_e32 v6, v7, v7
	v_max_f32_e32 v6, v10, v6
	v_sub_f32_e32 v4, v4, v6
	v_sub_f32_e32 v7, v7, v6
	v_mul_f32_e32 v10, 0x3fb8aa3b, v4
	v_mul_f32_e32 v11, 0x3fb8aa3b, v7
	v_fma_f32 v12, v4, s1, -v10
	v_rndne_f32_e32 v13, v10
	v_fma_f32 v14, v7, s1, -v11
	v_rndne_f32_e32 v15, v11
	v_fmac_f32_e32 v12, 0x32a5705f, v4
	v_sub_f32_e32 v10, v10, v13
	v_fmac_f32_e32 v14, 0x32a5705f, v7
	v_sub_f32_e32 v11, v11, v15
	v_add_f32_e32 v10, v10, v12
	v_cvt_i32_f32_e32 v13, v13
	v_add_f32_e32 v11, v11, v14
	v_exp_f32_e32 v10, v10
	v_cvt_i32_f32_e32 v15, v15
	v_exp_f32_e32 v11, v11
	v_cmp_ngt_f32_e32 vcc, s6, v4
	v_ldexp_f32 v8, v10, v13
	v_cndmask_b32_e32 v8, 0, v8, vcc
	v_ldexp_f32 v10, v11, v15
	v_cmp_ngt_f32_e32 vcc, s6, v7
	v_cndmask_b32_e32 v10, 0, v10, vcc
	v_cmp_nlt_f32_e32 vcc, s7, v4
	v_cndmask_b32_e32 v8, v9, v8, vcc
	v_cmp_nlt_f32_e32 vcc, s7, v7
	v_lshlrev_b32_e32 v12, 3, v2
	v_cndmask_b32_e32 v9, v9, v10, vcc
	v_add_f32_e32 v7, v8, v9
	v_cmp_gt_u32_e32 vcc, s2, v12
	s_and_saveexec_b64 s[6:7], vcc
	s_cbranch_execz .LBB1_3
; %bb.2:
	v_mul_lo_u32 v4, v3, s2
	v_lshlrev_b64 v[18:19], 1, v[4:5]
	v_mov_b32_e32 v3, s5
	v_add_co_u32_e32 v14, vcc, s4, v18
	v_addc_co_u32_e32 v15, vcc, v3, v19, vcc
	v_mov_b32_e32 v3, s13
	v_add_co_u32_e32 v10, vcc, s12, v18
	v_addc_co_u32_e32 v11, vcc, v3, v19, vcc
	v_mov_b32_e32 v3, v5
	v_lshlrev_b64 v[4:5], 4, v[2:3]
	v_add_co_u32_e32 v10, vcc, v10, v4
	v_addc_co_u32_e32 v11, vcc, v11, v5, vcc
	v_add_co_u32_e32 v14, vcc, v14, v4
	v_addc_co_u32_e32 v15, vcc, v15, v5, vcc
	global_load_dwordx4 v[10:13], v[10:11], off
	v_div_scale_f32 v3, s[0:1], v7, v7, v9
	global_load_dwordx4 v[14:17], v[14:15], off
	v_div_scale_f32 v21, s[0:1], v7, v7, v8
	v_rcp_f32_e32 v24, v3
	v_rcp_f32_e32 v25, v21
	v_mov_b32_e32 v23, s9
	v_add_co_u32_e64 v18, s[2:3], s8, v18
	v_addc_co_u32_e64 v19, s[2:3], v23, v19, s[2:3]
	v_fma_f32 v23, -v3, v24, 1.0
	v_div_scale_f32 v20, vcc, v9, v7, v9
	v_fma_f32 v26, -v21, v25, 1.0
	v_fmac_f32_e32 v24, v23, v24
	v_div_scale_f32 v22, s[0:1], v8, v7, v8
	v_fmac_f32_e32 v25, v26, v25
	v_mul_f32_e32 v23, v20, v24
	v_mul_f32_e32 v26, v22, v25
	v_fma_f32 v27, -v3, v23, v20
	v_fma_f32 v28, -v21, v26, v22
	v_fmac_f32_e32 v23, v27, v24
	v_fmac_f32_e32 v26, v28, v25
	v_fma_f32 v3, -v3, v23, v20
	v_fma_f32 v20, -v21, v26, v22
	v_div_fmas_f32 v3, v3, v24, v23
	s_mov_b64 vcc, s[0:1]
	v_div_fixup_f32 v3, v3, v7, v9
	v_div_fmas_f32 v9, v20, v25, v26
	v_div_fixup_f32 v8, v9, v7, v8
	v_add_co_u32_e32 v4, vcc, v18, v4
	s_mov_b32 s0, 0x5040100
	v_addc_co_u32_e32 v5, vcc, v19, v5, vcc
	s_waitcnt vmcnt(1)
	v_lshrrev_b32_e32 v9, 16, v10
	v_and_b32_e32 v10, 0xffff, v10
	;;#ASMSTART
	v_cvt_f32_f16 v10, v10;
	;;#ASMEND
	s_waitcnt vmcnt(0)
	v_lshrrev_b32_e32 v23, 16, v14
	v_and_b32_e32 v14, 0xffff, v14
	;;#ASMSTART
	v_cvt_f32_f16 v14, v14;
	;;#ASMEND
	v_mul_f32_e32 v14, v3, v14
	v_fmac_f32_e32 v14, v8, v10
	;;#ASMSTART
	v_cvt_f16_f32 v10, v14;

	;;#ASMEND
	;;#ASMSTART
	v_cvt_f32_f16 v9, v9;
	;;#ASMEND
	;;#ASMSTART
	v_cvt_f32_f16 v14, v23;
	;;#ASMEND
	v_mul_f32_e32 v14, v3, v14
	v_lshrrev_b32_e32 v20, 16, v11
	v_and_b32_e32 v11, 0xffff, v11
	v_fmac_f32_e32 v14, v8, v9
	v_lshrrev_b32_e32 v24, 16, v15
	v_and_b32_e32 v15, 0xffff, v15
	;;#ASMSTART
	v_cvt_f16_f32 v9, v14;

	;;#ASMEND
	;;#ASMSTART
	v_cvt_f32_f16 v11, v11;
	;;#ASMEND
	;;#ASMSTART
	v_cvt_f32_f16 v14, v15;
	;;#ASMEND
	v_mul_f32_e32 v14, v3, v14
	v_fmac_f32_e32 v14, v8, v11
	;;#ASMSTART
	v_cvt_f16_f32 v11, v14;

	;;#ASMEND
	;;#ASMSTART
	v_cvt_f32_f16 v14, v20;
	;;#ASMEND
	;;#ASMSTART
	v_cvt_f32_f16 v15, v24;
	;;#ASMEND
	v_mul_f32_e32 v15, v3, v15
	v_lshrrev_b32_e32 v21, 16, v12
	v_and_b32_e32 v12, 0xffff, v12
	v_fmac_f32_e32 v15, v8, v14
	v_lshrrev_b32_e32 v25, 16, v16
	v_and_b32_e32 v16, 0xffff, v16
	;;#ASMSTART
	v_cvt_f16_f32 v14, v15;

	;;#ASMEND
	;;#ASMSTART
	v_cvt_f32_f16 v12, v12;
	;;#ASMEND
	;; [unrolled: 28-line block ×3, first 2 shown]
	;;#ASMSTART
	v_cvt_f32_f16 v16, v17;
	;;#ASMEND
	v_mul_f32_e32 v16, v3, v16
	v_fmac_f32_e32 v16, v8, v13
	;;#ASMSTART
	v_cvt_f16_f32 v13, v16;

	;;#ASMEND
	;;#ASMSTART
	v_cvt_f32_f16 v16, v22;
	;;#ASMEND
	;;#ASMSTART
	v_cvt_f32_f16 v17, v26;
	;;#ASMEND
	v_mul_f32_e32 v3, v3, v17
	v_fmac_f32_e32 v3, v8, v16
	;;#ASMSTART
	v_cvt_f16_f32 v3, v3;

	;;#ASMEND
	v_perm_b32 v8, v9, v10, s0
	v_perm_b32 v9, v14, v11, s0
	v_perm_b32 v10, v15, v12, s0
	v_perm_b32 v11, v3, v13, s0
	global_store_dwordx4 v[4:5], v[8:11], off
.LBB1_3:
	s_or_b64 exec, exec, s[6:7]
	s_cmp_lg_u64 s[10:11], 0
	s_cselect_b64 s[0:1], -1, 0
	v_cmp_eq_u32_e32 vcc, 0, v2
	s_and_b64 s[0:1], s[0:1], vcc
	s_and_b64 exec, exec, s[0:1]
	s_cbranch_execz .LBB1_5
; %bb.4:
	s_mov_b32 s0, 0x800000
	v_mov_b32_e32 v3, 0x4f800000
	v_cmp_gt_f32_e32 vcc, s0, v7
	v_cndmask_b32_e32 v3, 1.0, v3, vcc
	v_mul_f32_e32 v3, v7, v3
	v_log_f32_e32 v3, v3
	v_mov_b32_e32 v2, s11
	v_add_co_u32_e64 v0, s[0:1], s10, v0
	v_addc_co_u32_e64 v1, s[0:1], v2, v1, s[0:1]
	s_mov_b32 s0, 0x3f317217
	v_mul_f32_e32 v2, 0x3f317217, v3
	v_fma_f32 v4, v3, s0, -v2
	v_fmac_f32_e32 v4, 0x3377d1cf, v3
	s_mov_b32 s0, 0x7f800000
	v_add_f32_e32 v2, v2, v4
	v_cmp_lt_f32_e64 s[0:1], |v3|, s0
	v_cndmask_b32_e64 v2, v3, v2, s[0:1]
	v_mov_b32_e32 v3, 0x41b17218
	v_cndmask_b32_e32 v3, 0, v3, vcc
	v_sub_f32_e32 v2, v2, v3
	v_add_f32_e32 v2, v6, v2
	global_store_dword v[0:1], v2, off
.LBB1_5:
	s_endpgm
	.section	.rodata,"a",@progbits
	.p2align	6, 0x0
	.amdhsa_kernel _ZN4vllm24merge_attn_states_kernelItLj128EEEvPT_PfPKS1_PKfS5_S7_jjj
		.amdhsa_group_segment_fixed_size 0
		.amdhsa_private_segment_fixed_size 0
		.amdhsa_kernarg_size 60
		.amdhsa_user_sgpr_count 6
		.amdhsa_user_sgpr_private_segment_buffer 1
		.amdhsa_user_sgpr_dispatch_ptr 0
		.amdhsa_user_sgpr_queue_ptr 0
		.amdhsa_user_sgpr_kernarg_segment_ptr 1
		.amdhsa_user_sgpr_dispatch_id 0
		.amdhsa_user_sgpr_flat_scratch_init 0
		.amdhsa_user_sgpr_kernarg_preload_length 0
		.amdhsa_user_sgpr_kernarg_preload_offset 0
		.amdhsa_user_sgpr_private_segment_size 0
		.amdhsa_uses_dynamic_stack 0
		.amdhsa_system_sgpr_private_segment_wavefront_offset 0
		.amdhsa_system_sgpr_workgroup_id_x 1
		.amdhsa_system_sgpr_workgroup_id_y 0
		.amdhsa_system_sgpr_workgroup_id_z 0
		.amdhsa_system_sgpr_workgroup_info 0
		.amdhsa_system_vgpr_workitem_id 0
		.amdhsa_next_free_vgpr 29
		.amdhsa_next_free_sgpr 17
		.amdhsa_accum_offset 32
		.amdhsa_reserve_vcc 1
		.amdhsa_reserve_flat_scratch 0
		.amdhsa_float_round_mode_32 0
		.amdhsa_float_round_mode_16_64 0
		.amdhsa_float_denorm_mode_32 3
		.amdhsa_float_denorm_mode_16_64 3
		.amdhsa_dx10_clamp 1
		.amdhsa_ieee_mode 1
		.amdhsa_fp16_overflow 0
		.amdhsa_tg_split 0
		.amdhsa_exception_fp_ieee_invalid_op 0
		.amdhsa_exception_fp_denorm_src 0
		.amdhsa_exception_fp_ieee_div_zero 0
		.amdhsa_exception_fp_ieee_overflow 0
		.amdhsa_exception_fp_ieee_underflow 0
		.amdhsa_exception_fp_ieee_inexact 0
		.amdhsa_exception_int_div_zero 0
	.end_amdhsa_kernel
	.section	.text._ZN4vllm24merge_attn_states_kernelItLj128EEEvPT_PfPKS1_PKfS5_S7_jjj,"axG",@progbits,_ZN4vllm24merge_attn_states_kernelItLj128EEEvPT_PfPKS1_PKfS5_S7_jjj,comdat
.Lfunc_end1:
	.size	_ZN4vllm24merge_attn_states_kernelItLj128EEEvPT_PfPKS1_PKfS5_S7_jjj, .Lfunc_end1-_ZN4vllm24merge_attn_states_kernelItLj128EEEvPT_PfPKS1_PKfS5_S7_jjj
                                        ; -- End function
	.section	.AMDGPU.csdata,"",@progbits
; Kernel info:
; codeLenInByte = 1436
; NumSgprs: 21
; NumVgprs: 29
; NumAgprs: 0
; TotalNumVgprs: 29
; ScratchSize: 0
; MemoryBound: 0
; FloatMode: 240
; IeeeMode: 1
; LDSByteSize: 0 bytes/workgroup (compile time only)
; SGPRBlocks: 2
; VGPRBlocks: 3
; NumSGPRsForWavesPerEU: 21
; NumVGPRsForWavesPerEU: 29
; AccumOffset: 32
; Occupancy: 8
; WaveLimiterHint : 0
; COMPUTE_PGM_RSRC2:SCRATCH_EN: 0
; COMPUTE_PGM_RSRC2:USER_SGPR: 6
; COMPUTE_PGM_RSRC2:TRAP_HANDLER: 0
; COMPUTE_PGM_RSRC2:TGID_X_EN: 1
; COMPUTE_PGM_RSRC2:TGID_Y_EN: 0
; COMPUTE_PGM_RSRC2:TGID_Z_EN: 0
; COMPUTE_PGM_RSRC2:TIDIG_COMP_CNT: 0
; COMPUTE_PGM_RSRC3_GFX90A:ACCUM_OFFSET: 7
; COMPUTE_PGM_RSRC3_GFX90A:TG_SPLIT: 0
	.section	.text._ZN4vllm24merge_attn_states_kernelI14__hip_bfloat16Lj128EEEvPT_PfPKS2_PKfS6_S8_jjj,"axG",@progbits,_ZN4vllm24merge_attn_states_kernelI14__hip_bfloat16Lj128EEEvPT_PfPKS2_PKfS6_S8_jjj,comdat
	.protected	_ZN4vllm24merge_attn_states_kernelI14__hip_bfloat16Lj128EEEvPT_PfPKS2_PKfS6_S8_jjj ; -- Begin function _ZN4vllm24merge_attn_states_kernelI14__hip_bfloat16Lj128EEEvPT_PfPKS2_PKfS6_S8_jjj
	.globl	_ZN4vllm24merge_attn_states_kernelI14__hip_bfloat16Lj128EEEvPT_PfPKS2_PKfS6_S8_jjj
	.p2align	8
	.type	_ZN4vllm24merge_attn_states_kernelI14__hip_bfloat16Lj128EEEvPT_PfPKS2_PKfS6_S8_jjj,@function
_ZN4vllm24merge_attn_states_kernelI14__hip_bfloat16Lj128EEEvPT_PfPKS2_PKfS6_S8_jjj: ; @_ZN4vllm24merge_attn_states_kernelI14__hip_bfloat16Lj128EEEvPT_PfPKS2_PKfS6_S8_jjj
; %bb.0:
	s_load_dwordx4 s[0:3], s[4:5], 0x30
	v_lshl_add_u32 v2, s6, 7, v0
	s_waitcnt lgkmcnt(0)
	s_lshr_b32 s16, s2, 3
	s_mul_i32 s3, s1, s0
	s_mul_i32 s3, s3, s16
	v_cmp_gt_u32_e32 vcc, s3, v2
	s_and_saveexec_b64 s[6:7], vcc
	s_cbranch_execz .LBB2_37
; %bb.1:
	v_cvt_f32_u32_e32 v0, s16
	v_cvt_f32_u32_e32 v1, s1
	s_sub_i32 s3, 0, s16
	s_load_dwordx8 s[8:15], s[4:5], 0x0
	v_rcp_iflag_f32_e32 v0, v0
	v_rcp_iflag_f32_e32 v1, v1
	s_load_dwordx4 s[4:7], s[4:5], 0x20
	v_mov_b32_e32 v7, 0xff800000
	v_mul_f32_e32 v0, 0x4f7ffffe, v0
	v_cvt_u32_f32_e32 v0, v0
	v_mul_f32_e32 v1, 0x4f7ffffe, v1
	v_cvt_u32_f32_e32 v1, v1
	s_waitcnt lgkmcnt(0)
	v_mov_b32_e32 v5, s7
	v_mul_lo_u32 v3, s3, v0
	v_mul_hi_u32 v3, v0, v3
	v_add_u32_e32 v0, v0, v3
	v_mul_hi_u32 v0, v2, v0
	v_mul_lo_u32 v3, v0, s16
	v_sub_u32_e32 v3, v2, v3
	v_add_u32_e32 v4, 1, v0
	v_cmp_le_u32_e32 vcc, s16, v3
	v_cndmask_b32_e32 v0, v0, v4, vcc
	v_subrev_u32_e32 v4, s16, v3
	v_cndmask_b32_e32 v3, v3, v4, vcc
	v_add_u32_e32 v4, 1, v0
	v_cmp_le_u32_e32 vcc, s16, v3
	s_sub_i32 s3, 0, s1
	v_cndmask_b32_e32 v3, v0, v4, vcc
	v_mul_lo_u32 v0, s3, v1
	v_mul_hi_u32 v0, v1, v0
	v_add_u32_e32 v0, v1, v0
	v_mul_hi_u32 v0, v3, v0
	v_mul_lo_u32 v1, v0, s1
	v_sub_u32_e32 v1, v3, v1
	v_add_u32_e32 v4, 1, v0
	v_cmp_le_u32_e32 vcc, s1, v1
	v_cndmask_b32_e32 v0, v0, v4, vcc
	v_subrev_u32_e32 v4, s1, v1
	v_cndmask_b32_e32 v1, v1, v4, vcc
	v_add_u32_e32 v4, 1, v0
	v_cmp_le_u32_e32 vcc, s1, v1
	v_cndmask_b32_e32 v0, v0, v4, vcc
	v_mul_lo_u32 v1, v0, s1
	v_sub_u32_e32 v1, v3, v1
	v_mad_u64_u32 v[0:1], s[0:1], v1, s0, v[0:1]
	v_mov_b32_e32 v1, 0
	v_lshlrev_b64 v[8:9], 2, v[0:1]
	v_add_co_u32_e32 v4, vcc, s6, v8
	v_addc_co_u32_e32 v5, vcc, v5, v9, vcc
	v_mov_b32_e32 v0, s15
	global_load_dword v6, v[4:5], off
	v_add_co_u32_e32 v4, vcc, s14, v8
	v_addc_co_u32_e32 v5, vcc, v0, v9, vcc
	global_load_dword v0, v[4:5], off
	v_mov_b32_e32 v4, 0x204
	v_mov_b32_e32 v11, 0x7f800000
	s_mov_b32 s0, 0x3fb8aa3b
	s_mov_b32 s1, 0xc2ce8ed0
	;; [unrolled: 1-line block ×3, first 2 shown]
	v_mul_lo_u32 v12, v3, s16
	s_mov_b32 s3, 0x7f800000
	s_waitcnt vmcnt(1)
	v_cmp_class_f32_e32 vcc, v6, v4
	v_cndmask_b32_e32 v5, v6, v7, vcc
	s_waitcnt vmcnt(0)
	v_cmp_class_f32_e32 vcc, v0, v4
	v_cndmask_b32_e32 v4, v0, v7, vcc
	v_max_f32_e32 v0, v5, v5
	v_max_f32_e32 v6, v4, v4
	;; [unrolled: 1-line block ×3, first 2 shown]
	v_pk_add_f32 v[4:5], v[4:5], v[10:11] op_sel_hi:[1,0] neg_lo:[0,1] neg_hi:[0,1]
	v_mul_f32_e32 v0, 0x3fb8aa3b, v5
	v_mul_f32_e32 v6, 0x3fb8aa3b, v4
	v_fma_f32 v7, v5, s0, -v0
	v_rndne_f32_e32 v13, v0
	v_fma_f32 v14, v4, s0, -v6
	v_rndne_f32_e32 v15, v6
	v_fmac_f32_e32 v7, 0x32a5705f, v5
	v_sub_f32_e32 v0, v0, v13
	v_fmac_f32_e32 v14, 0x32a5705f, v4
	v_sub_f32_e32 v6, v6, v15
	v_add_f32_e32 v0, v0, v7
	v_cvt_i32_f32_e32 v13, v13
	v_add_f32_e32 v6, v6, v14
	v_exp_f32_e32 v0, v0
	v_cvt_i32_f32_e32 v15, v15
	v_exp_f32_e32 v6, v6
	v_cmp_ngt_f32_e32 vcc, s1, v5
	v_ldexp_f32 v0, v0, v13
	v_cndmask_b32_e32 v0, 0, v0, vcc
	v_ldexp_f32 v6, v6, v15
	v_cmp_ngt_f32_e32 vcc, s1, v4
	v_cndmask_b32_e32 v6, 0, v6, vcc
	v_cmp_nlt_f32_e32 vcc, s6, v5
	v_sub_u32_e32 v14, v2, v12
	v_cndmask_b32_e32 v21, v11, v0, vcc
	v_cmp_nlt_f32_e32 vcc, s6, v4
	v_lshlrev_b32_e32 v2, 3, v14
	v_cndmask_b32_e32 v20, v11, v6, vcc
	v_mov_b32_e32 v0, v21
	v_pk_add_f32 v[12:13], v[20:21], v[0:1] op_sel_hi:[1,0]
	v_cmp_gt_u32_e32 vcc, s2, v2
	s_and_saveexec_b64 s[6:7], vcc
	s_cbranch_execz .LBB2_35
; %bb.2:
	v_mul_lo_u32 v0, v3, s2
	v_lshlrev_b64 v[16:17], 1, v[0:1]
	v_mov_b32_e32 v0, s5
	v_add_co_u32_e32 v4, vcc, s4, v16
	v_addc_co_u32_e32 v5, vcc, v0, v17, vcc
	v_mov_b32_e32 v0, s13
	v_add_co_u32_e32 v2, vcc, s12, v16
	v_mov_b32_e32 v15, v1
	v_addc_co_u32_e32 v3, vcc, v0, v17, vcc
	v_lshlrev_b64 v[18:19], 4, v[14:15]
	v_add_co_u32_e32 v0, vcc, v2, v18
	v_addc_co_u32_e32 v1, vcc, v3, v19, vcc
	v_add_co_u32_e32 v4, vcc, v4, v18
	v_addc_co_u32_e32 v5, vcc, v5, v19, vcc
	global_load_dwordx4 v[4:7], v[4:5], off
	v_div_scale_f32 v11, s[0:1], v12, v12, v21
	global_load_dwordx4 v[0:3], v[0:1], off
	v_div_scale_f32 v15, s[0:1], v12, v12, v20
	v_rcp_f32_e32 v22, v11
	v_rcp_f32_e32 v23, v15
	v_div_scale_f32 v13, vcc, v21, v12, v21
	v_fma_f32 v25, -v11, v22, 1.0
	v_fma_f32 v26, -v15, v23, 1.0
	v_fmac_f32_e32 v22, v25, v22
	v_div_scale_f32 v24, s[0:1], v20, v12, v20
	v_fmac_f32_e32 v23, v26, v23
	v_mul_f32_e32 v25, v13, v22
	v_mul_f32_e32 v26, v24, v23
	v_fma_f32 v27, -v11, v25, v13
	v_fma_f32 v28, -v15, v26, v24
	v_fmac_f32_e32 v25, v27, v22
	v_fmac_f32_e32 v26, v28, v23
	v_fma_f32 v11, -v11, v25, v13
	v_fma_f32 v13, -v15, v26, v24
	v_div_fmas_f32 v11, v11, v22, v25
	s_mov_b64 vcc, s[0:1]
	v_div_fixup_f32 v21, v11, v12, v21
	v_div_fmas_f32 v11, v13, v23, v26
	v_div_fixup_f32 v20, v11, v12, v20
	s_waitcnt vmcnt(1)
	v_lshlrev_b32_e32 v13, 16, v4
	v_mul_f32_e32 v13, v21, v13
	s_waitcnt vmcnt(0)
	v_lshlrev_b32_e32 v11, 16, v0
	v_fmac_f32_e32 v13, v20, v11
	v_and_b32_e32 v11, 0x7f800000, v13
	v_cmp_ne_u32_e32 vcc, s3, v11
                                        ; implicit-def: $vgpr11
	s_and_saveexec_b64 s[0:1], vcc
	s_xor_b64 s[0:1], exec, s[0:1]
; %bb.3:
	v_bfe_u32 v11, v13, 16, 1
	s_movk_i32 s2, 0x7fff
	v_add3_u32 v11, v13, v11, s2
                                        ; implicit-def: $vgpr13
; %bb.4:
	s_andn2_saveexec_b64 s[0:1], s[0:1]
; %bb.5:
	v_mov_b32_e32 v11, 0
	v_or_b32_e32 v15, 0x10000, v13
	v_cmp_eq_u32_sdwa vcc, v13, v11 src0_sel:WORD_0 src1_sel:DWORD
	v_cndmask_b32_e32 v11, v15, v13, vcc
; %bb.6:
	s_or_b64 exec, exec, s[0:1]
	v_and_b32_e32 v13, 0xffff0000, v0
	v_and_b32_e32 v0, 0xffff0000, v4
	v_mul_f32_e32 v0, v21, v0
	v_fmac_f32_e32 v0, v20, v13
	s_mov_b32 s0, 0x7f800000
	v_and_b32_e32 v4, 0x7f800000, v0
	v_cmp_ne_u32_e32 vcc, s0, v4
                                        ; implicit-def: $vgpr4
	s_and_saveexec_b64 s[0:1], vcc
	s_xor_b64 s[0:1], exec, s[0:1]
; %bb.7:
	v_bfe_u32 v4, v0, 16, 1
	s_movk_i32 s2, 0x7fff
	v_add3_u32 v4, v0, v4, s2
                                        ; implicit-def: $vgpr0
; %bb.8:
	s_andn2_saveexec_b64 s[0:1], s[0:1]
; %bb.9:
	v_mov_b32_e32 v4, 0
	v_or_b32_e32 v13, 0x10000, v0
	v_cmp_eq_u32_sdwa vcc, v0, v4 src0_sel:WORD_0 src1_sel:DWORD
	v_cndmask_b32_e32 v4, v13, v0, vcc
; %bb.10:
	s_or_b64 exec, exec, s[0:1]
	v_lshlrev_b32_e32 v0, 16, v5
	v_lshlrev_b32_e32 v13, 16, v1
	v_mul_f32_e32 v0, v21, v0
	v_fmac_f32_e32 v0, v20, v13
	s_mov_b32 s0, 0x7f800000
	v_and_b32_e32 v13, 0x7f800000, v0
	v_cmp_ne_u32_e32 vcc, s0, v13
                                        ; implicit-def: $vgpr13
	s_and_saveexec_b64 s[0:1], vcc
	s_xor_b64 s[0:1], exec, s[0:1]
; %bb.11:
	v_bfe_u32 v13, v0, 16, 1
	s_movk_i32 s2, 0x7fff
	v_add3_u32 v13, v0, v13, s2
                                        ; implicit-def: $vgpr0
; %bb.12:
	s_andn2_saveexec_b64 s[0:1], s[0:1]
; %bb.13:
	v_mov_b32_e32 v13, 0
	v_or_b32_e32 v15, 0x10000, v0
	v_cmp_eq_u32_sdwa vcc, v0, v13 src0_sel:WORD_0 src1_sel:DWORD
	v_cndmask_b32_e32 v13, v15, v0, vcc
; %bb.14:
	s_or_b64 exec, exec, s[0:1]
	v_and_b32_e32 v0, 0xffff0000, v5
	v_and_b32_e32 v1, 0xffff0000, v1
	v_mul_f32_e32 v0, v21, v0
	v_fmac_f32_e32 v0, v20, v1
	s_mov_b32 s0, 0x7f800000
	v_and_b32_e32 v1, 0x7f800000, v0
	v_cmp_ne_u32_e32 vcc, s0, v1
                                        ; implicit-def: $vgpr5
	s_and_saveexec_b64 s[0:1], vcc
	s_xor_b64 s[0:1], exec, s[0:1]
; %bb.15:
	v_bfe_u32 v1, v0, 16, 1
	s_movk_i32 s2, 0x7fff
	v_add3_u32 v5, v0, v1, s2
                                        ; implicit-def: $vgpr0
; %bb.16:
	s_andn2_saveexec_b64 s[0:1], s[0:1]
; %bb.17:
	v_mov_b32_e32 v1, 0
	v_or_b32_e32 v5, 0x10000, v0
	v_cmp_eq_u32_sdwa vcc, v0, v1 src0_sel:WORD_0 src1_sel:DWORD
	v_cndmask_b32_e32 v5, v5, v0, vcc
; %bb.18:
	s_or_b64 exec, exec, s[0:1]
	v_lshlrev_b32_e32 v0, 16, v6
	v_lshlrev_b32_e32 v1, 16, v2
	v_mul_f32_e32 v0, v21, v0
	v_fmac_f32_e32 v0, v20, v1
	s_mov_b32 s0, 0x7f800000
	v_and_b32_e32 v1, 0x7f800000, v0
	v_cmp_ne_u32_e32 vcc, s0, v1
                                        ; implicit-def: $vgpr15
	s_and_saveexec_b64 s[0:1], vcc
	s_xor_b64 s[0:1], exec, s[0:1]
; %bb.19:
	v_bfe_u32 v1, v0, 16, 1
	s_movk_i32 s2, 0x7fff
	v_add3_u32 v15, v0, v1, s2
                                        ; implicit-def: $vgpr0
; %bb.20:
	s_andn2_saveexec_b64 s[0:1], s[0:1]
; %bb.21:
	v_mov_b32_e32 v1, 0
	v_or_b32_e32 v15, 0x10000, v0
	v_cmp_eq_u32_sdwa vcc, v0, v1 src0_sel:WORD_0 src1_sel:DWORD
	v_cndmask_b32_e32 v15, v15, v0, vcc
; %bb.22:
	s_or_b64 exec, exec, s[0:1]
	v_and_b32_e32 v0, 0xffff0000, v6
	v_and_b32_e32 v1, 0xffff0000, v2
	v_mul_f32_e32 v0, v21, v0
	v_fmac_f32_e32 v0, v20, v1
	s_mov_b32 s0, 0x7f800000
	v_and_b32_e32 v1, 0x7f800000, v0
	v_cmp_ne_u32_e32 vcc, s0, v1
                                        ; implicit-def: $vgpr2
	s_and_saveexec_b64 s[0:1], vcc
	s_xor_b64 s[0:1], exec, s[0:1]
; %bb.23:
	v_bfe_u32 v1, v0, 16, 1
	s_movk_i32 s2, 0x7fff
	v_add3_u32 v2, v0, v1, s2
                                        ; implicit-def: $vgpr0
; %bb.24:
	s_andn2_saveexec_b64 s[0:1], s[0:1]
; %bb.25:
	v_mov_b32_e32 v1, 0
	v_or_b32_e32 v2, 0x10000, v0
	v_cmp_eq_u32_sdwa vcc, v0, v1 src0_sel:WORD_0 src1_sel:DWORD
	v_cndmask_b32_e32 v2, v2, v0, vcc
; %bb.26:
	s_or_b64 exec, exec, s[0:1]
	v_lshlrev_b32_e32 v0, 16, v7
	v_lshlrev_b32_e32 v1, 16, v3
	v_mul_f32_e32 v0, v21, v0
	v_fmac_f32_e32 v0, v20, v1
	s_mov_b32 s0, 0x7f800000
	v_and_b32_e32 v1, 0x7f800000, v0
	v_cmp_ne_u32_e32 vcc, s0, v1
                                        ; implicit-def: $vgpr6
	s_and_saveexec_b64 s[0:1], vcc
	s_xor_b64 s[0:1], exec, s[0:1]
; %bb.27:
	v_bfe_u32 v1, v0, 16, 1
	s_movk_i32 s2, 0x7fff
	v_add3_u32 v6, v0, v1, s2
                                        ; implicit-def: $vgpr0
; %bb.28:
	s_andn2_saveexec_b64 s[0:1], s[0:1]
; %bb.29:
	v_mov_b32_e32 v1, 0
	v_or_b32_e32 v6, 0x10000, v0
	v_cmp_eq_u32_sdwa vcc, v0, v1 src0_sel:WORD_0 src1_sel:DWORD
	v_cndmask_b32_e32 v6, v6, v0, vcc
; %bb.30:
	s_or_b64 exec, exec, s[0:1]
	v_and_b32_e32 v1, 0xffff0000, v7
	v_and_b32_e32 v0, 0xffff0000, v3
	v_pk_mul_f32 v[22:23], v[20:21], v[0:1]
	v_mov_b32_e32 v22, v23
	v_pk_fma_f32 v[0:1], v[20:21], v[0:1], v[22:23]
	s_mov_b32 s0, 0x7f800000
	v_and_b32_e32 v1, 0x7f800000, v0
	v_cmp_ne_u32_e32 vcc, s0, v1
                                        ; implicit-def: $vgpr3
	s_and_saveexec_b64 s[0:1], vcc
	s_xor_b64 s[0:1], exec, s[0:1]
; %bb.31:
	v_bfe_u32 v1, v0, 16, 1
	s_movk_i32 s2, 0x7fff
	v_add3_u32 v3, v0, v1, s2
                                        ; implicit-def: $vgpr0_vgpr1
; %bb.32:
	s_andn2_saveexec_b64 s[0:1], s[0:1]
; %bb.33:
	v_mov_b32_e32 v1, 0
	v_or_b32_e32 v3, 0x10000, v0
	v_cmp_eq_u32_sdwa vcc, v0, v1 src0_sel:WORD_0 src1_sel:DWORD
	v_cndmask_b32_e32 v3, v3, v0, vcc
; %bb.34:
	s_or_b64 exec, exec, s[0:1]
	v_mov_b32_e32 v0, s9
	v_add_co_u32_e32 v1, vcc, s8, v16
	v_addc_co_u32_e32 v0, vcc, v0, v17, vcc
	v_add_co_u32_e32 v16, vcc, v1, v18
	s_mov_b32 s0, 0x7060302
	v_addc_co_u32_e32 v17, vcc, v0, v19, vcc
	v_perm_b32 v3, v3, v6, s0
	v_perm_b32 v2, v2, v15, s0
	;; [unrolled: 1-line block ×4, first 2 shown]
	global_store_dwordx4 v[16:17], v[0:3], off
.LBB2_35:
	s_or_b64 exec, exec, s[6:7]
	s_cmp_lg_u64 s[10:11], 0
	s_cselect_b64 s[0:1], -1, 0
	v_cmp_eq_u32_e32 vcc, 0, v14
	s_and_b64 s[0:1], s[0:1], vcc
	s_and_b64 exec, exec, s[0:1]
	s_cbranch_execz .LBB2_37
; %bb.36:
	s_mov_b32 s0, 0x800000
	v_mov_b32_e32 v0, 0x4f800000
	v_cmp_gt_f32_e32 vcc, s0, v12
	v_cndmask_b32_e32 v0, 1.0, v0, vcc
	v_mul_f32_e32 v0, v12, v0
	v_log_f32_e32 v2, v0
	v_mov_b32_e32 v1, s11
	v_add_co_u32_e64 v0, s[0:1], s10, v8
	v_addc_co_u32_e64 v1, s[0:1], v1, v9, s[0:1]
	s_mov_b32 s0, 0x3f317217
	v_mul_f32_e32 v3, 0x3f317217, v2
	v_fma_f32 v4, v2, s0, -v3
	v_fmac_f32_e32 v4, 0x3377d1cf, v2
	s_mov_b32 s0, 0x7f800000
	v_add_f32_e32 v3, v3, v4
	v_cmp_lt_f32_e64 s[0:1], |v2|, s0
	v_cndmask_b32_e64 v2, v2, v3, s[0:1]
	v_mov_b32_e32 v3, 0x41b17218
	v_cndmask_b32_e32 v3, 0, v3, vcc
	v_sub_f32_e32 v2, v2, v3
	v_add_f32_e32 v2, v10, v2
	global_store_dword v[0:1], v2, off
.LBB2_37:
	s_endpgm
	.section	.rodata,"a",@progbits
	.p2align	6, 0x0
	.amdhsa_kernel _ZN4vllm24merge_attn_states_kernelI14__hip_bfloat16Lj128EEEvPT_PfPKS2_PKfS6_S8_jjj
		.amdhsa_group_segment_fixed_size 0
		.amdhsa_private_segment_fixed_size 0
		.amdhsa_kernarg_size 60
		.amdhsa_user_sgpr_count 6
		.amdhsa_user_sgpr_private_segment_buffer 1
		.amdhsa_user_sgpr_dispatch_ptr 0
		.amdhsa_user_sgpr_queue_ptr 0
		.amdhsa_user_sgpr_kernarg_segment_ptr 1
		.amdhsa_user_sgpr_dispatch_id 0
		.amdhsa_user_sgpr_flat_scratch_init 0
		.amdhsa_user_sgpr_kernarg_preload_length 0
		.amdhsa_user_sgpr_kernarg_preload_offset 0
		.amdhsa_user_sgpr_private_segment_size 0
		.amdhsa_uses_dynamic_stack 0
		.amdhsa_system_sgpr_private_segment_wavefront_offset 0
		.amdhsa_system_sgpr_workgroup_id_x 1
		.amdhsa_system_sgpr_workgroup_id_y 0
		.amdhsa_system_sgpr_workgroup_id_z 0
		.amdhsa_system_sgpr_workgroup_info 0
		.amdhsa_system_vgpr_workitem_id 0
		.amdhsa_next_free_vgpr 29
		.amdhsa_next_free_sgpr 17
		.amdhsa_accum_offset 32
		.amdhsa_reserve_vcc 1
		.amdhsa_reserve_flat_scratch 0
		.amdhsa_float_round_mode_32 0
		.amdhsa_float_round_mode_16_64 0
		.amdhsa_float_denorm_mode_32 3
		.amdhsa_float_denorm_mode_16_64 3
		.amdhsa_dx10_clamp 1
		.amdhsa_ieee_mode 1
		.amdhsa_fp16_overflow 0
		.amdhsa_tg_split 0
		.amdhsa_exception_fp_ieee_invalid_op 0
		.amdhsa_exception_fp_denorm_src 0
		.amdhsa_exception_fp_ieee_div_zero 0
		.amdhsa_exception_fp_ieee_overflow 0
		.amdhsa_exception_fp_ieee_underflow 0
		.amdhsa_exception_fp_ieee_inexact 0
		.amdhsa_exception_int_div_zero 0
	.end_amdhsa_kernel
	.section	.text._ZN4vllm24merge_attn_states_kernelI14__hip_bfloat16Lj128EEEvPT_PfPKS2_PKfS6_S8_jjj,"axG",@progbits,_ZN4vllm24merge_attn_states_kernelI14__hip_bfloat16Lj128EEEvPT_PfPKS2_PKfS6_S8_jjj,comdat
.Lfunc_end2:
	.size	_ZN4vllm24merge_attn_states_kernelI14__hip_bfloat16Lj128EEEvPT_PfPKS2_PKfS6_S8_jjj, .Lfunc_end2-_ZN4vllm24merge_attn_states_kernelI14__hip_bfloat16Lj128EEEvPT_PfPKS2_PKfS6_S8_jjj
                                        ; -- End function
	.section	.AMDGPU.csdata,"",@progbits
; Kernel info:
; codeLenInByte = 1888
; NumSgprs: 21
; NumVgprs: 29
; NumAgprs: 0
; TotalNumVgprs: 29
; ScratchSize: 0
; MemoryBound: 0
; FloatMode: 240
; IeeeMode: 1
; LDSByteSize: 0 bytes/workgroup (compile time only)
; SGPRBlocks: 2
; VGPRBlocks: 3
; NumSGPRsForWavesPerEU: 21
; NumVGPRsForWavesPerEU: 29
; AccumOffset: 32
; Occupancy: 8
; WaveLimiterHint : 0
; COMPUTE_PGM_RSRC2:SCRATCH_EN: 0
; COMPUTE_PGM_RSRC2:USER_SGPR: 6
; COMPUTE_PGM_RSRC2:TRAP_HANDLER: 0
; COMPUTE_PGM_RSRC2:TGID_X_EN: 1
; COMPUTE_PGM_RSRC2:TGID_Y_EN: 0
; COMPUTE_PGM_RSRC2:TGID_Z_EN: 0
; COMPUTE_PGM_RSRC2:TIDIG_COMP_CNT: 0
; COMPUTE_PGM_RSRC3_GFX90A:ACCUM_OFFSET: 7
; COMPUTE_PGM_RSRC3_GFX90A:TG_SPLIT: 0
	.text
	.p2alignl 6, 3212836864
	.fill 256, 4, 3212836864
	.type	__hip_cuid_2ec4be7abb876a58,@object ; @__hip_cuid_2ec4be7abb876a58
	.section	.bss,"aw",@nobits
	.globl	__hip_cuid_2ec4be7abb876a58
__hip_cuid_2ec4be7abb876a58:
	.byte	0                               ; 0x0
	.size	__hip_cuid_2ec4be7abb876a58, 1

	.ident	"AMD clang version 19.0.0git (https://github.com/RadeonOpenCompute/llvm-project roc-6.4.0 25133 c7fe45cf4b819c5991fe208aaa96edf142730f1d)"
	.section	".note.GNU-stack","",@progbits
	.addrsig
	.addrsig_sym __hip_cuid_2ec4be7abb876a58
	.amdgpu_metadata
---
amdhsa.kernels:
  - .agpr_count:     0
    .args:
      - .address_space:  global
        .offset:         0
        .size:           8
        .value_kind:     global_buffer
      - .address_space:  global
        .offset:         8
        .size:           8
        .value_kind:     global_buffer
      - .address_space:  global
        .offset:         16
        .size:           8
        .value_kind:     global_buffer
      - .address_space:  global
        .offset:         24
        .size:           8
        .value_kind:     global_buffer
      - .address_space:  global
        .offset:         32
        .size:           8
        .value_kind:     global_buffer
      - .address_space:  global
        .offset:         40
        .size:           8
        .value_kind:     global_buffer
      - .offset:         48
        .size:           4
        .value_kind:     by_value
      - .offset:         52
        .size:           4
        .value_kind:     by_value
      - .offset:         56
        .size:           4
        .value_kind:     by_value
    .group_segment_fixed_size: 0
    .kernarg_segment_align: 8
    .kernarg_segment_size: 60
    .language:       OpenCL C
    .language_version:
      - 2
      - 0
    .max_flat_workgroup_size: 1024
    .name:           _ZN4vllm24merge_attn_states_kernelIfLj128EEEvPT_PfPKS1_PKfS5_S7_jjj
    .private_segment_fixed_size: 0
    .sgpr_count:     21
    .sgpr_spill_count: 0
    .symbol:         _ZN4vllm24merge_attn_states_kernelIfLj128EEEvPT_PfPKS1_PKfS5_S7_jjj.kd
    .uniform_work_group_size: 1
    .uses_dynamic_stack: false
    .vgpr_count:     27
    .vgpr_spill_count: 0
    .wavefront_size: 64
  - .agpr_count:     0
    .args:
      - .address_space:  global
        .offset:         0
        .size:           8
        .value_kind:     global_buffer
      - .address_space:  global
        .offset:         8
        .size:           8
        .value_kind:     global_buffer
      - .address_space:  global
        .offset:         16
        .size:           8
        .value_kind:     global_buffer
      - .address_space:  global
        .offset:         24
        .size:           8
        .value_kind:     global_buffer
      - .address_space:  global
        .offset:         32
        .size:           8
        .value_kind:     global_buffer
      - .address_space:  global
        .offset:         40
        .size:           8
        .value_kind:     global_buffer
      - .offset:         48
        .size:           4
        .value_kind:     by_value
      - .offset:         52
        .size:           4
        .value_kind:     by_value
      - .offset:         56
        .size:           4
        .value_kind:     by_value
    .group_segment_fixed_size: 0
    .kernarg_segment_align: 8
    .kernarg_segment_size: 60
    .language:       OpenCL C
    .language_version:
      - 2
      - 0
    .max_flat_workgroup_size: 1024
    .name:           _ZN4vllm24merge_attn_states_kernelItLj128EEEvPT_PfPKS1_PKfS5_S7_jjj
    .private_segment_fixed_size: 0
    .sgpr_count:     21
    .sgpr_spill_count: 0
    .symbol:         _ZN4vllm24merge_attn_states_kernelItLj128EEEvPT_PfPKS1_PKfS5_S7_jjj.kd
    .uniform_work_group_size: 1
    .uses_dynamic_stack: false
    .vgpr_count:     29
    .vgpr_spill_count: 0
    .wavefront_size: 64
  - .agpr_count:     0
    .args:
      - .address_space:  global
        .offset:         0
        .size:           8
        .value_kind:     global_buffer
      - .address_space:  global
        .offset:         8
        .size:           8
        .value_kind:     global_buffer
      - .address_space:  global
        .offset:         16
        .size:           8
        .value_kind:     global_buffer
      - .address_space:  global
        .offset:         24
        .size:           8
        .value_kind:     global_buffer
      - .address_space:  global
        .offset:         32
        .size:           8
        .value_kind:     global_buffer
      - .address_space:  global
        .offset:         40
        .size:           8
        .value_kind:     global_buffer
      - .offset:         48
        .size:           4
        .value_kind:     by_value
      - .offset:         52
        .size:           4
        .value_kind:     by_value
      - .offset:         56
        .size:           4
        .value_kind:     by_value
    .group_segment_fixed_size: 0
    .kernarg_segment_align: 8
    .kernarg_segment_size: 60
    .language:       OpenCL C
    .language_version:
      - 2
      - 0
    .max_flat_workgroup_size: 1024
    .name:           _ZN4vllm24merge_attn_states_kernelI14__hip_bfloat16Lj128EEEvPT_PfPKS2_PKfS6_S8_jjj
    .private_segment_fixed_size: 0
    .sgpr_count:     21
    .sgpr_spill_count: 0
    .symbol:         _ZN4vllm24merge_attn_states_kernelI14__hip_bfloat16Lj128EEEvPT_PfPKS2_PKfS6_S8_jjj.kd
    .uniform_work_group_size: 1
    .uses_dynamic_stack: false
    .vgpr_count:     29
    .vgpr_spill_count: 0
    .wavefront_size: 64
amdhsa.target:   amdgcn-amd-amdhsa--gfx90a
amdhsa.version:
  - 1
  - 2
...

	.end_amdgpu_metadata
